;; amdgpu-corpus repo=ROCm/rocFFT kind=compiled arch=gfx906 opt=O3
	.text
	.amdgcn_target "amdgcn-amd-amdhsa--gfx906"
	.amdhsa_code_object_version 6
	.protected	fft_rtc_fwd_len165_factors_11_5_3_wgs_55_tpt_11_sp_op_CI_CI_unitstride_sbrr_dirReg ; -- Begin function fft_rtc_fwd_len165_factors_11_5_3_wgs_55_tpt_11_sp_op_CI_CI_unitstride_sbrr_dirReg
	.globl	fft_rtc_fwd_len165_factors_11_5_3_wgs_55_tpt_11_sp_op_CI_CI_unitstride_sbrr_dirReg
	.p2align	8
	.type	fft_rtc_fwd_len165_factors_11_5_3_wgs_55_tpt_11_sp_op_CI_CI_unitstride_sbrr_dirReg,@function
fft_rtc_fwd_len165_factors_11_5_3_wgs_55_tpt_11_sp_op_CI_CI_unitstride_sbrr_dirReg: ; @fft_rtc_fwd_len165_factors_11_5_3_wgs_55_tpt_11_sp_op_CI_CI_unitstride_sbrr_dirReg
; %bb.0:
	s_load_dwordx4 s[8:11], s[4:5], 0x58
	s_load_dwordx4 s[12:15], s[4:5], 0x0
	;; [unrolled: 1-line block ×3, first 2 shown]
	v_mul_u32_u24_e32 v1, 0x1746, v0
	v_lshrrev_b32_e32 v1, 16, v1
	v_mad_u64_u32 v[3:4], s[0:1], s6, 5, v[1:2]
	v_mov_b32_e32 v5, 0
	v_mov_b32_e32 v1, 0
	;; [unrolled: 1-line block ×3, first 2 shown]
	s_waitcnt lgkmcnt(0)
	v_cmp_lt_u64_e64 s[0:1], s[14:15], 2
	v_mov_b32_e32 v2, 0
	v_mov_b32_e32 v41, v2
	;; [unrolled: 1-line block ×3, first 2 shown]
	s_and_b64 vcc, exec, s[0:1]
	v_mov_b32_e32 v40, v1
	v_mov_b32_e32 v43, v3
	s_cbranch_vccnz .LBB0_8
; %bb.1:
	s_load_dwordx2 s[0:1], s[4:5], 0x10
	s_add_u32 s2, s18, 8
	s_addc_u32 s3, s19, 0
	s_add_u32 s6, s16, 8
	v_mov_b32_e32 v1, 0
	s_addc_u32 s7, s17, 0
	v_mov_b32_e32 v2, 0
	s_waitcnt lgkmcnt(0)
	s_add_u32 s20, s0, 8
	v_mov_b32_e32 v41, v2
	v_mov_b32_e32 v8, v4
	s_addc_u32 s21, s1, 0
	s_mov_b64 s[22:23], 1
	v_mov_b32_e32 v40, v1
	v_mov_b32_e32 v7, v3
.LBB0_2:                                ; =>This Inner Loop Header: Depth=1
	s_load_dwordx2 s[24:25], s[20:21], 0x0
                                        ; implicit-def: $vgpr43_vgpr44
	s_waitcnt lgkmcnt(0)
	v_or_b32_e32 v6, s25, v8
	v_cmp_ne_u64_e32 vcc, 0, v[5:6]
	s_and_saveexec_b64 s[0:1], vcc
	s_xor_b64 s[26:27], exec, s[0:1]
	s_cbranch_execz .LBB0_4
; %bb.3:                                ;   in Loop: Header=BB0_2 Depth=1
	v_cvt_f32_u32_e32 v4, s24
	v_cvt_f32_u32_e32 v6, s25
	s_sub_u32 s0, 0, s24
	s_subb_u32 s1, 0, s25
	v_mac_f32_e32 v4, 0x4f800000, v6
	v_rcp_f32_e32 v4, v4
	v_mul_f32_e32 v4, 0x5f7ffffc, v4
	v_mul_f32_e32 v6, 0x2f800000, v4
	v_trunc_f32_e32 v6, v6
	v_mac_f32_e32 v4, 0xcf800000, v6
	v_cvt_u32_f32_e32 v6, v6
	v_cvt_u32_f32_e32 v4, v4
	v_mul_lo_u32 v9, s0, v6
	v_mul_hi_u32 v10, s0, v4
	v_mul_lo_u32 v12, s1, v4
	v_mul_lo_u32 v11, s0, v4
	v_add_u32_e32 v9, v10, v9
	v_add_u32_e32 v9, v9, v12
	v_mul_hi_u32 v10, v4, v11
	v_mul_lo_u32 v12, v4, v9
	v_mul_hi_u32 v14, v4, v9
	v_mul_hi_u32 v13, v6, v11
	v_mul_lo_u32 v11, v6, v11
	v_mul_hi_u32 v15, v6, v9
	v_add_co_u32_e32 v10, vcc, v10, v12
	v_addc_co_u32_e32 v12, vcc, 0, v14, vcc
	v_mul_lo_u32 v9, v6, v9
	v_add_co_u32_e32 v10, vcc, v10, v11
	v_addc_co_u32_e32 v10, vcc, v12, v13, vcc
	v_addc_co_u32_e32 v11, vcc, 0, v15, vcc
	v_add_co_u32_e32 v9, vcc, v10, v9
	v_addc_co_u32_e32 v10, vcc, 0, v11, vcc
	v_add_co_u32_e32 v4, vcc, v4, v9
	v_addc_co_u32_e32 v6, vcc, v6, v10, vcc
	v_mul_lo_u32 v9, s0, v6
	v_mul_hi_u32 v10, s0, v4
	v_mul_lo_u32 v11, s1, v4
	v_mul_lo_u32 v12, s0, v4
	v_add_u32_e32 v9, v10, v9
	v_add_u32_e32 v9, v9, v11
	v_mul_lo_u32 v13, v4, v9
	v_mul_hi_u32 v14, v4, v12
	v_mul_hi_u32 v15, v4, v9
	;; [unrolled: 1-line block ×3, first 2 shown]
	v_mul_lo_u32 v12, v6, v12
	v_mul_hi_u32 v10, v6, v9
	v_add_co_u32_e32 v13, vcc, v14, v13
	v_addc_co_u32_e32 v14, vcc, 0, v15, vcc
	v_mul_lo_u32 v9, v6, v9
	v_add_co_u32_e32 v12, vcc, v13, v12
	v_addc_co_u32_e32 v11, vcc, v14, v11, vcc
	v_addc_co_u32_e32 v10, vcc, 0, v10, vcc
	v_add_co_u32_e32 v9, vcc, v11, v9
	v_addc_co_u32_e32 v10, vcc, 0, v10, vcc
	v_add_co_u32_e32 v4, vcc, v4, v9
	v_addc_co_u32_e32 v6, vcc, v6, v10, vcc
	v_mad_u64_u32 v[9:10], s[0:1], v7, v6, 0
	v_mul_hi_u32 v11, v7, v4
	v_add_co_u32_e32 v13, vcc, v11, v9
	v_addc_co_u32_e32 v14, vcc, 0, v10, vcc
	v_mad_u64_u32 v[9:10], s[0:1], v8, v4, 0
	v_mad_u64_u32 v[11:12], s[0:1], v8, v6, 0
	v_add_co_u32_e32 v4, vcc, v13, v9
	v_addc_co_u32_e32 v4, vcc, v14, v10, vcc
	v_addc_co_u32_e32 v6, vcc, 0, v12, vcc
	v_add_co_u32_e32 v4, vcc, v4, v11
	v_addc_co_u32_e32 v6, vcc, 0, v6, vcc
	v_mul_lo_u32 v11, s25, v4
	v_mul_lo_u32 v12, s24, v6
	v_mad_u64_u32 v[9:10], s[0:1], s24, v4, 0
	v_add3_u32 v10, v10, v12, v11
	v_sub_u32_e32 v11, v8, v10
	v_mov_b32_e32 v12, s25
	v_sub_co_u32_e32 v9, vcc, v7, v9
	v_subb_co_u32_e64 v11, s[0:1], v11, v12, vcc
	v_subrev_co_u32_e64 v12, s[0:1], s24, v9
	v_subbrev_co_u32_e64 v11, s[0:1], 0, v11, s[0:1]
	v_cmp_le_u32_e64 s[0:1], s25, v11
	v_cndmask_b32_e64 v13, 0, -1, s[0:1]
	v_cmp_le_u32_e64 s[0:1], s24, v12
	v_cndmask_b32_e64 v12, 0, -1, s[0:1]
	v_cmp_eq_u32_e64 s[0:1], s25, v11
	v_cndmask_b32_e64 v11, v13, v12, s[0:1]
	v_add_co_u32_e64 v12, s[0:1], 2, v4
	v_addc_co_u32_e64 v13, s[0:1], 0, v6, s[0:1]
	v_add_co_u32_e64 v14, s[0:1], 1, v4
	v_addc_co_u32_e64 v15, s[0:1], 0, v6, s[0:1]
	v_subb_co_u32_e32 v10, vcc, v8, v10, vcc
	v_cmp_ne_u32_e64 s[0:1], 0, v11
	v_cmp_le_u32_e32 vcc, s25, v10
	v_cndmask_b32_e64 v11, v15, v13, s[0:1]
	v_cndmask_b32_e64 v13, 0, -1, vcc
	v_cmp_le_u32_e32 vcc, s24, v9
	v_cndmask_b32_e64 v9, 0, -1, vcc
	v_cmp_eq_u32_e32 vcc, s25, v10
	v_cndmask_b32_e32 v9, v13, v9, vcc
	v_cmp_ne_u32_e32 vcc, 0, v9
	v_cndmask_b32_e32 v44, v6, v11, vcc
	v_cndmask_b32_e64 v6, v14, v12, s[0:1]
	v_cndmask_b32_e32 v43, v4, v6, vcc
.LBB0_4:                                ;   in Loop: Header=BB0_2 Depth=1
	s_andn2_saveexec_b64 s[0:1], s[26:27]
	s_cbranch_execz .LBB0_6
; %bb.5:                                ;   in Loop: Header=BB0_2 Depth=1
	v_cvt_f32_u32_e32 v4, s24
	s_sub_i32 s26, 0, s24
	v_mov_b32_e32 v44, v5
	v_rcp_iflag_f32_e32 v4, v4
	v_mul_f32_e32 v4, 0x4f7ffffe, v4
	v_cvt_u32_f32_e32 v4, v4
	v_mul_lo_u32 v6, s26, v4
	v_mul_hi_u32 v6, v4, v6
	v_add_u32_e32 v4, v4, v6
	v_mul_hi_u32 v4, v7, v4
	v_mul_lo_u32 v6, v4, s24
	v_add_u32_e32 v9, 1, v4
	v_sub_u32_e32 v6, v7, v6
	v_subrev_u32_e32 v10, s24, v6
	v_cmp_le_u32_e32 vcc, s24, v6
	v_cndmask_b32_e32 v6, v6, v10, vcc
	v_cndmask_b32_e32 v4, v4, v9, vcc
	v_add_u32_e32 v9, 1, v4
	v_cmp_le_u32_e32 vcc, s24, v6
	v_cndmask_b32_e32 v43, v4, v9, vcc
.LBB0_6:                                ;   in Loop: Header=BB0_2 Depth=1
	s_or_b64 exec, exec, s[0:1]
	v_mul_lo_u32 v4, v44, s24
	v_mul_lo_u32 v6, v43, s25
	v_mad_u64_u32 v[9:10], s[0:1], v43, s24, 0
	s_load_dwordx2 s[0:1], s[6:7], 0x0
	s_load_dwordx2 s[24:25], s[2:3], 0x0
	v_add3_u32 v4, v10, v6, v4
	v_sub_co_u32_e32 v6, vcc, v7, v9
	v_subb_co_u32_e32 v4, vcc, v8, v4, vcc
	s_waitcnt lgkmcnt(0)
	v_mul_lo_u32 v7, s0, v4
	v_mul_lo_u32 v8, s1, v6
	v_mad_u64_u32 v[1:2], s[0:1], s0, v6, v[1:2]
	s_add_u32 s22, s22, 1
	s_addc_u32 s23, s23, 0
	s_add_u32 s2, s2, 8
	v_mul_lo_u32 v4, s24, v4
	v_mul_lo_u32 v9, s25, v6
	v_mad_u64_u32 v[40:41], s[0:1], s24, v6, v[40:41]
	v_add3_u32 v2, v8, v2, v7
	s_addc_u32 s3, s3, 0
	v_mov_b32_e32 v6, s14
	s_add_u32 s6, s6, 8
	v_mov_b32_e32 v7, s15
	s_addc_u32 s7, s7, 0
	v_cmp_ge_u64_e32 vcc, s[22:23], v[6:7]
	s_add_u32 s20, s20, 8
	v_add3_u32 v41, v9, v41, v4
	s_addc_u32 s21, s21, 0
	s_cbranch_vccnz .LBB0_8
; %bb.7:                                ;   in Loop: Header=BB0_2 Depth=1
	v_mov_b32_e32 v7, v43
	v_mov_b32_e32 v8, v44
	s_branch .LBB0_2
.LBB0_8:
	s_mov_b32 s2, 0xcccccccd
	s_load_dwordx2 s[0:1], s[4:5], 0x28
	v_mul_hi_u32 v4, v3, s2
	s_lshl_b64 s[6:7], s[14:15], 3
	s_add_u32 s2, s18, s6
	s_addc_u32 s3, s19, s7
	v_lshrrev_b32_e32 v4, 2, v4
	v_lshl_add_u32 v4, v4, 2, v4
	s_waitcnt lgkmcnt(0)
	v_cmp_gt_u64_e32 vcc, s[0:1], v[43:44]
	v_cmp_le_u64_e64 s[0:1], s[0:1], v[43:44]
	v_sub_u32_e32 v3, v3, v4
                                        ; implicit-def: $vgpr42
                                        ; implicit-def: $vgpr52
	s_and_saveexec_b64 s[4:5], s[0:1]
	s_xor_b64 s[0:1], exec, s[4:5]
; %bb.9:
	s_mov_b32 s4, 0x1745d175
	v_mul_hi_u32 v1, v0, s4
	v_mul_u32_u24_e32 v1, 11, v1
	v_sub_u32_e32 v42, v0, v1
	v_add_u32_e32 v52, 11, v42
                                        ; implicit-def: $vgpr0
                                        ; implicit-def: $vgpr1_vgpr2
; %bb.10:
	s_or_saveexec_b64 s[4:5], s[0:1]
	v_mul_u32_u24_e32 v3, 0xa5, v3
	v_lshlrev_b32_e32 v53, 3, v3
	s_xor_b64 exec, exec, s[4:5]
	s_cbranch_execz .LBB0_12
; %bb.11:
	s_add_u32 s0, s16, s6
	s_addc_u32 s1, s17, s7
	s_load_dwordx2 s[0:1], s[0:1], 0x0
	s_mov_b32 s6, 0x1745d175
	v_mul_hi_u32 v5, v0, s6
	s_waitcnt lgkmcnt(0)
	v_mul_lo_u32 v6, s1, v43
	v_mul_lo_u32 v7, s0, v44
	v_mad_u64_u32 v[3:4], s[0:1], s0, v43, 0
	v_mul_u32_u24_e32 v5, 11, v5
	v_sub_u32_e32 v42, v0, v5
	v_add3_u32 v4, v4, v7, v6
	v_lshlrev_b64 v[3:4], 3, v[3:4]
	v_mov_b32_e32 v0, s9
	v_add_co_u32_e64 v3, s[0:1], s8, v3
	v_addc_co_u32_e64 v4, s[0:1], v0, v4, s[0:1]
	v_lshlrev_b64 v[0:1], 3, v[1:2]
	v_lshlrev_b32_e32 v32, 3, v42
	v_add_co_u32_e64 v0, s[0:1], v3, v0
	v_addc_co_u32_e64 v1, s[0:1], v4, v1, s[0:1]
	v_add_co_u32_e64 v0, s[0:1], v0, v32
	v_addc_co_u32_e64 v1, s[0:1], 0, v1, s[0:1]
	global_load_dwordx2 v[2:3], v[0:1], off
	global_load_dwordx2 v[4:5], v[0:1], off offset:88
	global_load_dwordx2 v[6:7], v[0:1], off offset:176
	;; [unrolled: 1-line block ×14, first 2 shown]
	v_add_u32_e32 v52, 11, v42
	v_add3_u32 v0, 0, v53, v32
	s_waitcnt vmcnt(13)
	ds_write2_b64 v0, v[2:3], v[4:5] offset1:11
	s_waitcnt vmcnt(11)
	ds_write2_b64 v0, v[6:7], v[8:9] offset0:22 offset1:33
	s_waitcnt vmcnt(9)
	ds_write2_b64 v0, v[10:11], v[12:13] offset0:44 offset1:55
	;; [unrolled: 2-line block ×6, first 2 shown]
	s_waitcnt vmcnt(0)
	ds_write_b64 v0, v[30:31] offset:1232
.LBB0_12:
	s_or_b64 exec, exec, s[4:5]
	v_add_u32_e32 v49, 0, v53
	v_lshlrev_b32_e32 v0, 3, v42
	v_add_u32_e32 v51, v49, v0
	v_add_u32_e32 v0, 0, v0
	;; [unrolled: 1-line block ×3, first 2 shown]
	s_load_dwordx2 s[2:3], s[2:3], 0x0
	s_waitcnt lgkmcnt(0)
	; wave barrier
	s_waitcnt lgkmcnt(0)
	ds_read2_b64 v[0:3], v50 offset0:11 offset1:15
	ds_read2_b64 v[36:39], v50 offset0:26 offset1:30
	;; [unrolled: 1-line block ×7, first 2 shown]
	ds_read_b64 v[54:55], v51
	ds_read2_b64 v[12:15], v50 offset0:116 offset1:120
	ds_read2_b64 v[4:7], v50 offset0:131 offset1:135
	;; [unrolled: 1-line block ×3, first 2 shown]
	ds_read_b64 v[45:46], v50 offset:1288
	s_waitcnt lgkmcnt(4)
	v_add_f32_e32 v47, v54, v2
	v_add_f32_e32 v48, v55, v3
	;; [unrolled: 1-line block ×13, first 2 shown]
	s_waitcnt lgkmcnt(1)
	v_add_f32_e32 v56, v10, v2
	v_sub_f32_e32 v2, v2, v10
	v_add_f32_e32 v48, v48, v19
	v_add_f32_e32 v47, v47, v14
	v_mul_f32_e32 v58, 0xbf0a6770, v2
	v_mul_f32_e32 v62, 0xbf68dda4, v2
	;; [unrolled: 1-line block ×5, first 2 shown]
	v_add_f32_e32 v48, v48, v15
	v_add_f32_e32 v47, v47, v6
	;; [unrolled: 1-line block ×3, first 2 shown]
	v_sub_f32_e32 v3, v3, v11
	s_mov_b32 s6, 0x3f575c64
	v_mov_b32_e32 v59, v58
	s_mov_b32 s7, 0x3ed4b147
	v_mov_b32_e32 v63, v62
	;; [unrolled: 2-line block ×5, first 2 shown]
	v_add_f32_e32 v48, v48, v7
	v_add_f32_e32 v47, v47, v10
	v_mul_f32_e32 v10, 0xbf0a6770, v3
	v_fmac_f32_e32 v59, 0x3f575c64, v57
	v_fma_f32 v58, v57, s6, -v58
	v_mul_f32_e32 v60, 0xbf68dda4, v3
	v_fmac_f32_e32 v63, 0x3ed4b147, v57
	v_fma_f32 v62, v57, s7, -v62
	;; [unrolled: 3-line block ×5, first 2 shown]
	v_add_f32_e32 v48, v48, v11
	v_fma_f32 v11, v56, s6, -v10
	v_add_f32_e32 v59, v55, v59
	v_fmac_f32_e32 v10, 0x3f575c64, v56
	v_add_f32_e32 v58, v55, v58
	v_fma_f32 v61, v56, s7, -v60
	v_add_f32_e32 v63, v55, v63
	v_fmac_f32_e32 v60, 0x3ed4b147, v56
	;; [unrolled: 4-line block ×5, first 2 shown]
	v_add_f32_e32 v2, v55, v2
	v_add_f32_e32 v55, v7, v39
	v_sub_f32_e32 v7, v39, v7
	v_add_f32_e32 v11, v54, v11
	v_add_f32_e32 v10, v54, v10
	;; [unrolled: 1-line block ×11, first 2 shown]
	v_sub_f32_e32 v6, v38, v6
	v_mul_f32_e32 v38, 0xbf68dda4, v7
	v_fma_f32 v39, v54, s7, -v38
	v_add_f32_e32 v11, v39, v11
	v_mul_f32_e32 v39, 0xbf68dda4, v6
	v_fmac_f32_e32 v38, 0x3ed4b147, v54
	v_mov_b32_e32 v56, v39
	v_add_f32_e32 v10, v38, v10
	v_fma_f32 v38, v55, s7, -v39
	v_mul_f32_e32 v39, 0xbf4178ce, v7
	v_fma_f32 v57, v54, s9, -v39
	v_fmac_f32_e32 v39, 0xbf27a4f4, v54
	v_fmac_f32_e32 v56, 0x3ed4b147, v55
	v_add_f32_e32 v38, v38, v58
	v_mul_f32_e32 v58, 0xbf4178ce, v6
	v_add_f32_e32 v39, v39, v60
	v_mul_f32_e32 v60, 0x3e903f40, v7
	v_add_f32_e32 v56, v56, v59
	v_add_f32_e32 v57, v57, v61
	v_mov_b32_e32 v59, v58
	v_fma_f32 v58, v55, s9, -v58
	v_fma_f32 v61, v54, s14, -v60
	v_fmac_f32_e32 v60, 0xbf75a155, v54
	v_fmac_f32_e32 v59, 0xbf27a4f4, v55
	v_add_f32_e32 v58, v58, v62
	v_mul_f32_e32 v62, 0x3e903f40, v6
	v_add_f32_e32 v60, v60, v64
	v_mul_f32_e32 v64, 0x3f7d64f0, v7
	v_add_f32_e32 v59, v59, v63
	v_add_f32_e32 v61, v61, v65
	v_mov_b32_e32 v63, v62
	v_fma_f32 v62, v55, s14, -v62
	v_fma_f32 v65, v54, s8, -v64
	v_fmac_f32_e32 v64, 0xbe11bafb, v54
	v_mul_f32_e32 v7, 0x3f0a6770, v7
	v_add_f32_e32 v62, v62, v66
	v_mul_f32_e32 v66, 0x3f7d64f0, v6
	v_add_f32_e32 v64, v64, v68
	v_fma_f32 v68, v54, s6, -v7
	v_mul_f32_e32 v6, 0x3f0a6770, v6
	v_fmac_f32_e32 v7, 0x3f575c64, v54
	v_add_f32_e32 v65, v65, v69
	v_mov_b32_e32 v69, v6
	v_add_f32_e32 v3, v7, v3
	v_fma_f32 v6, v55, s6, -v6
	v_add_f32_e32 v7, v15, v35
	v_sub_f32_e32 v15, v35, v15
	v_add_f32_e32 v2, v6, v2
	v_add_f32_e32 v6, v14, v34
	v_sub_f32_e32 v14, v34, v14
	v_mul_f32_e32 v34, 0xbf7d64f0, v15
	v_fma_f32 v35, v6, s8, -v34
	v_fmac_f32_e32 v63, 0xbf75a155, v55
	v_add_f32_e32 v11, v35, v11
	v_mul_f32_e32 v35, 0xbf7d64f0, v14
	v_fmac_f32_e32 v34, 0xbe11bafb, v6
	v_add_f32_e32 v63, v63, v67
	v_mov_b32_e32 v67, v66
	v_mov_b32_e32 v54, v35
	v_add_f32_e32 v10, v34, v10
	v_fma_f32 v34, v7, s8, -v35
	v_mul_f32_e32 v35, 0x3e903f40, v15
	v_fmac_f32_e32 v67, 0xbe11bafb, v55
	v_fma_f32 v66, v55, s8, -v66
	v_fmac_f32_e32 v69, 0x3f575c64, v55
	v_fmac_f32_e32 v54, 0xbe11bafb, v7
	v_add_f32_e32 v34, v34, v38
	v_fma_f32 v38, v6, s14, -v35
	v_mul_f32_e32 v55, 0x3e903f40, v14
	v_fmac_f32_e32 v35, 0xbf75a155, v6
	v_add_f32_e32 v54, v54, v56
	v_mov_b32_e32 v56, v55
	v_add_f32_e32 v35, v35, v39
	v_fma_f32 v39, v7, s14, -v55
	v_mul_f32_e32 v55, 0x3f68dda4, v15
	v_add_f32_e32 v38, v38, v57
	v_fma_f32 v57, v6, s7, -v55
	v_fmac_f32_e32 v55, 0x3ed4b147, v6
	v_fmac_f32_e32 v56, 0xbf75a155, v7
	v_add_f32_e32 v39, v39, v58
	v_mul_f32_e32 v58, 0x3f68dda4, v14
	v_add_f32_e32 v55, v55, v60
	v_mul_f32_e32 v60, 0xbf0a6770, v15
	v_add_f32_e32 v56, v56, v59
	v_add_f32_e32 v57, v57, v61
	v_mov_b32_e32 v59, v58
	v_fma_f32 v58, v7, s7, -v58
	v_fma_f32 v61, v6, s6, -v60
	v_fmac_f32_e32 v60, 0x3f575c64, v6
	v_mul_f32_e32 v15, 0xbf4178ce, v15
	v_add_f32_e32 v58, v58, v62
	v_mul_f32_e32 v62, 0xbf0a6770, v14
	v_add_f32_e32 v60, v60, v64
	v_fma_f32 v64, v6, s9, -v15
	v_mul_f32_e32 v14, 0xbf4178ce, v14
	v_fmac_f32_e32 v15, 0xbf27a4f4, v6
	v_fmac_f32_e32 v59, 0x3ed4b147, v7
	v_add_f32_e32 v3, v15, v3
	v_fma_f32 v6, v7, s9, -v14
	v_sub_f32_e32 v15, v31, v19
	v_add_f32_e32 v59, v59, v63
	v_add_f32_e32 v61, v61, v65
	v_mov_b32_e32 v63, v62
	v_mov_b32_e32 v65, v14
	v_add_f32_e32 v2, v6, v2
	v_add_f32_e32 v6, v18, v30
	v_sub_f32_e32 v14, v30, v18
	v_mul_f32_e32 v18, 0xbf4178ce, v15
	v_fmac_f32_e32 v63, 0x3f575c64, v7
	v_fma_f32 v62, v7, s6, -v62
	v_fmac_f32_e32 v65, 0xbf27a4f4, v7
	v_add_f32_e32 v7, v19, v31
	v_fma_f32 v19, v6, s9, -v18
	v_add_f32_e32 v11, v19, v11
	v_mul_f32_e32 v19, 0xbf4178ce, v14
	v_fmac_f32_e32 v18, 0xbf27a4f4, v6
	v_mov_b32_e32 v30, v19
	v_add_f32_e32 v10, v18, v10
	v_fma_f32 v18, v7, s9, -v19
	v_mul_f32_e32 v19, 0x3f7d64f0, v15
	v_add_f32_e32 v18, v18, v34
	v_fma_f32 v31, v6, s8, -v19
	v_mul_f32_e32 v34, 0x3f7d64f0, v14
	v_fmac_f32_e32 v19, 0xbe11bafb, v6
	v_fmac_f32_e32 v30, 0xbf27a4f4, v7
	v_add_f32_e32 v31, v31, v38
	v_mov_b32_e32 v38, v34
	v_add_f32_e32 v19, v19, v35
	v_fma_f32 v34, v7, s8, -v34
	v_mul_f32_e32 v35, 0xbf0a6770, v15
	v_add_f32_e32 v30, v30, v54
	v_fmac_f32_e32 v38, 0xbe11bafb, v7
	v_add_f32_e32 v34, v34, v39
	v_fma_f32 v39, v6, s6, -v35
	v_mul_f32_e32 v54, 0xbf0a6770, v14
	v_fmac_f32_e32 v35, 0x3f575c64, v6
	v_add_f32_e32 v38, v38, v56
	v_mov_b32_e32 v56, v54
	v_add_f32_e32 v35, v35, v55
	v_fma_f32 v54, v7, s6, -v54
	v_mul_f32_e32 v55, 0xbe903f40, v15
	v_add_f32_e32 v39, v39, v57
	v_add_f32_e32 v54, v54, v58
	v_fma_f32 v57, v6, s14, -v55
	v_mul_f32_e32 v58, 0xbe903f40, v14
	v_mul_f32_e32 v14, 0x3f68dda4, v14
	v_add_f32_e32 v67, v67, v71
	v_add_f32_e32 v66, v66, v70
	;; [unrolled: 1-line block ×4, first 2 shown]
	v_fmac_f32_e32 v56, 0x3f575c64, v7
	v_add_f32_e32 v57, v57, v61
	v_fmac_f32_e32 v55, 0xbf75a155, v6
	v_mul_f32_e32 v15, 0x3f68dda4, v15
	v_mov_b32_e32 v61, v14
	v_add_f32_e32 v63, v63, v67
	v_add_f32_e32 v62, v62, v66
	;; [unrolled: 1-line block ×5, first 2 shown]
	v_mov_b32_e32 v59, v58
	v_add_f32_e32 v55, v55, v60
	v_fma_f32 v58, v7, s14, -v58
	v_fma_f32 v60, v6, s7, -v15
	v_fmac_f32_e32 v61, 0x3ed4b147, v7
	v_fmac_f32_e32 v15, 0x3ed4b147, v6
	v_sub_f32_e32 v66, v26, v22
	v_sub_f32_e32 v67, v27, v23
	v_fmac_f32_e32 v59, 0xbf75a155, v7
	v_add_f32_e32 v58, v58, v62
	v_add_f32_e32 v60, v60, v64
	;; [unrolled: 1-line block ×4, first 2 shown]
	v_fma_f32 v3, v7, s7, -v14
	v_add_f32_e32 v64, v22, v26
	v_add_f32_e32 v65, v23, v27
	v_mul_f32_e32 v6, 0xbe903f40, v67
	v_mul_f32_e32 v7, 0xbe903f40, v66
	v_add_f32_e32 v59, v59, v63
	v_add_f32_e32 v63, v3, v2
	v_fma_f32 v2, v64, s14, -v6
	v_mov_b32_e32 v3, v7
	v_fmac_f32_e32 v6, 0xbf75a155, v64
	v_fma_f32 v7, v65, s14, -v7
	v_mul_f32_e32 v14, 0x3f0a6770, v67
	v_mul_f32_e32 v15, 0x3f0a6770, v66
	;; [unrolled: 1-line block ×3, first 2 shown]
	v_add_f32_e32 v2, v2, v11
	v_add_f32_e32 v6, v6, v10
	;; [unrolled: 1-line block ×3, first 2 shown]
	v_fma_f32 v10, v64, s6, -v14
	v_mov_b32_e32 v11, v15
	v_fma_f32 v18, v64, s9, -v22
	v_fmac_f32_e32 v3, 0xbf75a155, v65
	v_add_f32_e32 v10, v10, v31
	v_fmac_f32_e32 v11, 0x3f575c64, v65
	v_fmac_f32_e32 v14, 0x3f575c64, v64
	v_add_f32_e32 v18, v18, v39
	v_mul_f32_e32 v23, 0xbf4178ce, v66
	v_fmac_f32_e32 v22, 0xbf27a4f4, v64
	v_mul_f32_e32 v31, 0x3f68dda4, v66
	v_mul_f32_e32 v39, 0xbf7d64f0, v66
	v_add_f32_e32 v3, v3, v30
	v_add_f32_e32 v11, v11, v38
	;; [unrolled: 1-line block ×3, first 2 shown]
	v_fma_f32 v15, v65, s6, -v15
	v_mov_b32_e32 v19, v23
	v_add_f32_e32 v22, v22, v35
	v_fma_f32 v23, v65, s9, -v23
	v_mul_f32_e32 v30, 0x3f68dda4, v67
	v_mov_b32_e32 v27, v31
	v_mul_f32_e32 v38, 0xbf7d64f0, v67
	v_mov_b32_e32 v35, v39
	s_movk_i32 s0, 0x58
	v_add_f32_e32 v15, v15, v34
	v_fmac_f32_e32 v19, 0xbf27a4f4, v65
	v_add_f32_e32 v23, v23, v54
	v_fma_f32 v26, v64, s7, -v30
	v_fmac_f32_e32 v27, 0x3ed4b147, v65
	v_fmac_f32_e32 v30, 0x3ed4b147, v64
	v_fma_f32 v31, v65, s7, -v31
	v_fma_f32 v34, v64, s8, -v38
	v_fmac_f32_e32 v35, 0xbe11bafb, v65
	v_fmac_f32_e32 v38, 0xbe11bafb, v64
	v_fma_f32 v39, v65, s8, -v39
	v_mad_u32_u24 v54, v42, s0, v49
	v_cmp_gt_u32_e64 s[0:1], 4, v42
	v_add_f32_e32 v19, v19, v56
	v_add_f32_e32 v26, v26, v57
	;; [unrolled: 1-line block ×9, first 2 shown]
	s_waitcnt lgkmcnt(0)
	; wave barrier
	s_waitcnt lgkmcnt(0)
	ds_write2_b64 v54, v[47:48], v[2:3] offset1:1
	ds_write2_b64 v54, v[10:11], v[18:19] offset0:2 offset1:3
	ds_write2_b64 v54, v[26:27], v[34:35] offset0:4 offset1:5
	;; [unrolled: 1-line block ×4, first 2 shown]
	ds_write_b64 v54, v[6:7] offset:80
	s_and_saveexec_b64 s[4:5], s[0:1]
	s_cbranch_execz .LBB0_14
; %bb.13:
	v_sub_f32_e32 v26, v36, v45
	v_mul_f32_e32 v27, 0xbe903f40, v26
	v_sub_f32_e32 v30, v32, v8
	v_add_f32_e32 v6, v46, v37
	v_mov_b32_e32 v2, v27
	v_mul_f32_e32 v31, 0x3f0a6770, v30
	v_fmac_f32_e32 v2, 0xbf75a155, v6
	v_add_f32_e32 v7, v9, v33
	v_mov_b32_e32 v3, v31
	v_sub_f32_e32 v34, v28, v4
	v_add_f32_e32 v2, v1, v2
	v_fmac_f32_e32 v3, 0x3f575c64, v7
	v_mul_f32_e32 v35, 0xbf4178ce, v34
	v_add_f32_e32 v2, v3, v2
	v_add_f32_e32 v10, v5, v29
	v_mov_b32_e32 v3, v35
	v_sub_f32_e32 v38, v24, v12
	v_fmac_f32_e32 v3, 0xbf27a4f4, v10
	v_mul_f32_e32 v39, 0x3f68dda4, v38
	v_add_f32_e32 v2, v3, v2
	v_add_f32_e32 v11, v13, v25
	v_mov_b32_e32 v3, v39
	v_sub_f32_e32 v47, v20, v16
	;; [unrolled: 6-line block ×3, first 2 shown]
	v_fmac_f32_e32 v3, 0xbe11bafb, v14
	v_add_f32_e32 v15, v45, v36
	v_mul_f32_e32 v55, 0xbe903f40, v54
	v_sub_f32_e32 v56, v33, v9
	v_add_f32_e32 v3, v3, v2
	v_fma_f32 v2, v15, s14, -v55
	v_add_f32_e32 v18, v8, v32
	v_mul_f32_e32 v57, 0x3f0a6770, v56
	v_add_f32_e32 v2, v0, v2
	v_fma_f32 v19, v18, s6, -v57
	v_sub_f32_e32 v58, v29, v5
	v_add_f32_e32 v23, v1, v37
	v_add_f32_e32 v2, v19, v2
	;; [unrolled: 1-line block ×3, first 2 shown]
	v_mul_f32_e32 v59, 0xbf4178ce, v58
	v_add_f32_e32 v36, v0, v36
	v_add_f32_e32 v23, v23, v33
	v_fma_f32 v22, v19, s9, -v59
	v_sub_f32_e32 v37, v25, v13
	v_add_f32_e32 v32, v36, v32
	v_add_f32_e32 v23, v23, v29
	;; [unrolled: 1-line block ×4, first 2 shown]
	v_mul_f32_e32 v60, 0x3f68dda4, v37
	v_add_f32_e32 v28, v32, v28
	v_add_f32_e32 v23, v23, v25
	v_fma_f32 v61, v22, s7, -v60
	v_sub_f32_e32 v33, v21, v17
	v_add_f32_e32 v25, v28, v24
	v_add_f32_e32 v21, v23, v21
	;; [unrolled: 1-line block ×4, first 2 shown]
	v_mul_f32_e32 v36, 0xbf7d64f0, v33
	v_add_f32_e32 v20, v25, v20
	v_add_f32_e32 v17, v21, v17
	v_mul_f32_e32 v73, 0xbf7d64f0, v54
	v_fma_f32 v62, v61, s8, -v36
	v_add_f32_e32 v16, v20, v16
	v_add_f32_e32 v17, v17, v13
	v_fma_f32 v13, v15, s8, -v73
	v_mul_f32_e32 v74, 0x3e903f40, v56
	v_add_f32_e32 v2, v62, v2
	v_mul_f32_e32 v62, 0xbf4178ce, v26
	v_add_f32_e32 v12, v16, v12
	v_add_f32_e32 v13, v0, v13
	v_fma_f32 v16, v18, s14, -v74
	v_mul_f32_e32 v75, 0x3f68dda4, v58
	v_mov_b32_e32 v63, v62
	v_mul_f32_e32 v64, 0x3f7d64f0, v30
	v_add_f32_e32 v13, v16, v13
	v_fma_f32 v16, v19, s7, -v75
	v_mul_f32_e32 v76, 0xbf0a6770, v37
	v_fmac_f32_e32 v63, 0xbf27a4f4, v6
	v_mov_b32_e32 v65, v64
	v_mul_f32_e32 v29, 0xbf0a6770, v34
	v_add_f32_e32 v16, v16, v13
	v_add_f32_e32 v4, v12, v4
	v_fma_f32 v12, v22, s6, -v76
	v_mul_f32_e32 v77, 0xbf4178ce, v33
	v_add_f32_e32 v63, v1, v63
	v_fmac_f32_e32 v65, 0xbe11bafb, v7
	v_mov_b32_e32 v32, v29
	v_add_f32_e32 v12, v12, v16
	v_fma_f32 v16, v61, s9, -v77
	v_mul_f32_e32 v78, 0xbf68dda4, v26
	v_add_f32_e32 v63, v65, v63
	v_fmac_f32_e32 v32, 0x3f575c64, v10
	v_mul_f32_e32 v66, 0xbf4178ce, v54
	v_add_f32_e32 v12, v16, v12
	v_mov_b32_e32 v16, v78
	v_mul_f32_e32 v79, 0xbf4178ce, v30
	v_add_f32_e32 v32, v32, v63
	v_mul_f32_e32 v63, 0xbe903f40, v38
	v_fma_f32 v24, v15, s9, -v66
	v_mul_f32_e32 v28, 0x3f7d64f0, v56
	v_add_f32_e32 v5, v17, v5
	v_fmac_f32_e32 v16, 0x3ed4b147, v6
	v_mov_b32_e32 v17, v79
	v_mul_f32_e32 v80, 0x3e903f40, v34
	v_mov_b32_e32 v65, v63
	v_add_f32_e32 v24, v0, v24
	v_fma_f32 v67, v18, s8, -v28
	v_add_f32_e32 v16, v1, v16
	v_fmac_f32_e32 v17, 0xbf27a4f4, v7
	v_add_f32_e32 v4, v4, v8
	v_mov_b32_e32 v8, v80
	v_mul_f32_e32 v81, 0x3f7d64f0, v38
	v_fmac_f32_e32 v65, 0xbf75a155, v11
	v_add_f32_e32 v24, v67, v24
	v_mul_f32_e32 v67, 0xbf0a6770, v58
	v_add_f32_e32 v16, v17, v16
	v_add_f32_e32 v5, v5, v9
	v_fmac_f32_e32 v8, 0xbf75a155, v10
	v_mov_b32_e32 v9, v81
	v_add_f32_e32 v32, v65, v32
	v_mul_f32_e32 v65, 0x3f68dda4, v47
	v_fma_f32 v68, v19, s6, -v67
	v_add_f32_e32 v8, v8, v16
	v_fmac_f32_e32 v9, 0xbe11bafb, v11
	v_mul_f32_e32 v82, 0xbf68dda4, v54
	v_add_f32_e32 v68, v68, v24
	v_mov_b32_e32 v24, v65
	v_add_f32_e32 v8, v9, v8
	v_add_f32_e32 v4, v4, v45
	v_fma_f32 v9, v15, s7, -v82
	v_mul_f32_e32 v45, 0xbf4178ce, v56
	v_fmac_f32_e32 v24, 0x3ed4b147, v14
	v_mul_f32_e32 v25, 0xbe903f40, v37
	v_add_f32_e32 v5, v5, v46
	v_add_f32_e32 v9, v0, v9
	v_fma_f32 v16, v18, s9, -v45
	v_mul_f32_e32 v46, 0x3e903f40, v58
	v_add_f32_e32 v24, v24, v32
	v_fma_f32 v23, v22, s14, -v25
	v_mul_f32_e32 v32, 0x3f68dda4, v33
	;; [unrolled: 3-line block ×3, first 2 shown]
	v_add_f32_e32 v23, v23, v68
	v_fma_f32 v68, v61, s7, -v32
	v_add_f32_e32 v9, v16, v9
	v_fma_f32 v16, v22, s8, -v83
	v_mul_f32_e32 v84, 0x3f0a6770, v47
	v_add_f32_e32 v23, v68, v23
	v_mul_f32_e32 v68, 0xbf7d64f0, v26
	v_add_f32_e32 v16, v16, v9
	v_mov_b32_e32 v9, v84
	v_mov_b32_e32 v69, v68
	v_mul_f32_e32 v70, 0x3e903f40, v30
	v_fmac_f32_e32 v9, 0x3f575c64, v14
	v_mul_f32_e32 v85, 0x3f0a6770, v33
	v_fmac_f32_e32 v69, 0xbe11bafb, v6
	v_mov_b32_e32 v71, v70
	v_add_f32_e32 v9, v9, v8
	v_fma_f32 v8, v61, s6, -v85
	v_mul_f32_e32 v86, 0xbf0a6770, v26
	v_add_f32_e32 v69, v1, v69
	v_fmac_f32_e32 v71, 0xbf75a155, v7
	v_add_f32_e32 v8, v8, v16
	v_mov_b32_e32 v16, v86
	v_mul_f32_e32 v87, 0xbf68dda4, v30
	v_add_f32_e32 v69, v71, v69
	v_mul_f32_e32 v71, 0x3f68dda4, v34
	v_fmac_f32_e32 v16, 0x3f575c64, v6
	v_mov_b32_e32 v17, v87
	v_mov_b32_e32 v20, v71
	v_add_f32_e32 v16, v1, v16
	v_fmac_f32_e32 v17, 0x3ed4b147, v7
	v_mul_f32_e32 v34, 0xbf7d64f0, v34
	v_fmac_f32_e32 v20, 0x3ed4b147, v10
	v_add_f32_e32 v16, v17, v16
	v_mov_b32_e32 v17, v34
	v_add_f32_e32 v20, v20, v69
	v_mul_f32_e32 v69, 0xbf0a6770, v38
	v_fmac_f32_e32 v17, 0xbe11bafb, v10
	v_mul_f32_e32 v38, 0xbf4178ce, v38
	v_mov_b32_e32 v21, v69
	v_mul_f32_e32 v72, 0xbf4178ce, v47
	v_add_f32_e32 v16, v17, v16
	v_mov_b32_e32 v17, v38
	v_fmac_f32_e32 v21, 0x3f575c64, v11
	v_mov_b32_e32 v13, v72
	v_fmac_f32_e32 v17, 0xbf27a4f4, v11
	v_mul_f32_e32 v54, 0xbf0a6770, v54
	v_add_f32_e32 v20, v21, v20
	v_fmac_f32_e32 v13, 0xbf27a4f4, v14
	v_add_f32_e32 v16, v17, v16
	v_fma_f32 v17, v15, s6, -v54
	v_mul_f32_e32 v56, 0xbf68dda4, v56
	v_add_f32_e32 v13, v13, v20
	v_add_f32_e32 v17, v0, v17
	v_fma_f32 v20, v18, s7, -v56
	v_mul_f32_e32 v58, 0xbf7d64f0, v58
	v_add_f32_e32 v17, v20, v17
	v_fma_f32 v20, v19, s8, -v58
	v_mul_f32_e32 v37, 0xbf4178ce, v37
	;; [unrolled: 3-line block ×3, first 2 shown]
	v_add_f32_e32 v20, v20, v17
	v_mov_b32_e32 v17, v47
	v_fmac_f32_e32 v17, 0xbf75a155, v14
	v_mul_f32_e32 v33, 0xbe903f40, v33
	v_add_f32_e32 v17, v17, v16
	v_fma_f32 v16, v61, s14, -v33
	v_add_f32_e32 v16, v16, v20
	v_fma_f32 v20, v6, s14, -v27
	;; [unrolled: 2-line block ×5, first 2 shown]
	v_fmac_f32_e32 v55, 0xbf75a155, v15
	v_add_f32_e32 v20, v21, v20
	v_add_f32_e32 v21, v0, v55
	v_fmac_f32_e32 v57, 0x3f575c64, v18
	v_add_f32_e32 v21, v57, v21
	v_fmac_f32_e32 v59, 0xbf27a4f4, v19
	v_add_f32_e32 v26, v59, v21
	v_fma_f32 v21, v14, s8, -v48
	v_fmac_f32_e32 v60, 0x3ed4b147, v22
	v_add_f32_e32 v21, v21, v20
	v_add_f32_e32 v20, v60, v26
	v_fma_f32 v26, v6, s9, -v62
	v_add_f32_e32 v26, v1, v26
	v_fma_f32 v27, v7, s8, -v64
	;; [unrolled: 2-line block ×5, first 2 shown]
	v_fmac_f32_e32 v66, 0xbf27a4f4, v15
	v_add_f32_e32 v26, v27, v26
	v_add_f32_e32 v27, v0, v66
	v_fmac_f32_e32 v28, 0xbe11bafb, v18
	v_add_f32_e32 v27, v28, v27
	v_fmac_f32_e32 v67, 0x3f575c64, v19
	;; [unrolled: 2-line block ×3, first 2 shown]
	v_add_f32_e32 v25, v25, v27
	v_fma_f32 v27, v6, s8, -v68
	v_fma_f32 v29, v6, s7, -v78
	v_add_f32_e32 v27, v1, v27
	v_fma_f32 v28, v7, s14, -v70
	v_add_f32_e32 v29, v1, v29
	;; [unrolled: 2-line block ×4, first 2 shown]
	v_fma_f32 v30, v10, s14, -v80
	v_fma_f32 v6, v6, s6, -v86
	v_add_f32_e32 v27, v28, v27
	v_fma_f32 v28, v11, s6, -v69
	v_add_f32_e32 v29, v30, v29
	;; [unrolled: 2-line block ×4, first 2 shown]
	v_fma_f32 v28, v14, s9, -v72
	v_fmac_f32_e32 v73, 0xbe11bafb, v15
	v_add_f32_e32 v29, v30, v29
	v_fma_f32 v30, v14, s6, -v84
	v_fmac_f32_e32 v82, 0x3ed4b147, v15
	v_add_f32_e32 v1, v6, v1
	;; [unrolled: 3-line block ×3, first 2 shown]
	v_add_f32_e32 v27, v0, v73
	v_fmac_f32_e32 v74, 0xbf75a155, v18
	v_add_f32_e32 v30, v30, v29
	v_add_f32_e32 v29, v0, v82
	v_fmac_f32_e32 v45, 0xbf27a4f4, v18
	v_add_f32_e32 v1, v6, v1
	v_fma_f32 v6, v11, s9, -v38
	v_add_f32_e32 v0, v0, v54
	v_fmac_f32_e32 v56, 0x3ed4b147, v18
	v_add_f32_e32 v27, v74, v27
	v_fmac_f32_e32 v75, 0x3ed4b147, v19
	;; [unrolled: 2-line block ×3, first 2 shown]
	v_add_f32_e32 v1, v6, v1
	v_fma_f32 v6, v14, s14, -v47
	v_add_f32_e32 v0, v56, v0
	v_fmac_f32_e32 v58, 0xbe11bafb, v19
	v_add_f32_e32 v27, v75, v27
	v_fmac_f32_e32 v76, 0x3f575c64, v22
	;; [unrolled: 2-line block ×3, first 2 shown]
	v_add_f32_e32 v1, v6, v1
	v_add_f32_e32 v0, v58, v0
	v_fmac_f32_e32 v37, 0xbf27a4f4, v22
	v_mul_i32_i24_e32 v6, 0x58, v52
	v_fmac_f32_e32 v36, 0xbe11bafb, v61
	v_fmac_f32_e32 v32, 0x3ed4b147, v61
	v_add_f32_e32 v27, v76, v27
	v_fmac_f32_e32 v77, 0xbf27a4f4, v61
	v_add_f32_e32 v29, v83, v29
	;; [unrolled: 2-line block ×3, first 2 shown]
	v_fmac_f32_e32 v33, 0xbf75a155, v61
	v_add3_u32 v6, 0, v6, v53
	v_add_f32_e32 v20, v36, v20
	v_add_f32_e32 v25, v32, v25
	;; [unrolled: 1-line block ×5, first 2 shown]
	ds_write2_b64 v6, v[4:5], v[16:17] offset1:1
	ds_write2_b64 v6, v[8:9], v[12:13] offset0:2 offset1:3
	ds_write2_b64 v6, v[23:24], v[2:3] offset0:4 offset1:5
	;; [unrolled: 1-line block ×4, first 2 shown]
	ds_write_b64 v6, v[0:1] offset:80
.LBB0_14:
	s_or_b64 exec, exec, s[4:5]
	v_lshlrev_b32_e32 v0, 2, v42
	v_mov_b32_e32 v1, 0
	v_lshlrev_b64 v[4:5], 3, v[0:1]
	v_mov_b32_e32 v3, s13
	v_add_co_u32_e64 v12, s[0:1], s12, v4
	v_addc_co_u32_e64 v13, s[0:1], v3, v5, s[0:1]
	v_add_u32_e32 v60, 22, v42
	s_movk_i32 s0, 0x75
	v_mul_lo_u16_sdwa v2, v60, s0 dst_sel:DWORD dst_unused:UNUSED_PAD src0_sel:BYTE_0 src1_sel:DWORD
	s_waitcnt lgkmcnt(0)
	; wave barrier
	s_waitcnt lgkmcnt(0)
	global_load_dwordx4 v[4:7], v[12:13], off
	global_load_dwordx4 v[8:11], v[12:13], off offset:16
	v_sub_u16_sdwa v12, v60, v2 dst_sel:DWORD dst_unused:UNUSED_PAD src0_sel:DWORD src1_sel:BYTE_1
	v_lshrrev_b16_e32 v12, 1, v12
	v_and_b32_e32 v12, 0x7f, v12
	v_add_u16_sdwa v2, v12, v2 dst_sel:DWORD dst_unused:UNUSED_PAD src0_sel:DWORD src1_sel:BYTE_1
	v_lshrrev_b16_e32 v2, 3, v2
	v_mul_lo_u16_e32 v2, 11, v2
	v_mov_b32_e32 v0, 5
	v_sub_u16_e32 v61, v60, v2
	v_lshlrev_b32_sdwa v0, v0, v61 dst_sel:DWORD dst_unused:UNUSED_PAD src0_sel:DWORD src1_sel:BYTE_0
	global_load_dwordx4 v[12:15], v0, s[12:13]
	global_load_dwordx4 v[16:19], v0, s[12:13] offset:16
	ds_read_b64 v[54:55], v51
	ds_read2_b64 v[20:23], v50 offset0:22 offset1:33
	ds_read2_b64 v[24:27], v50 offset0:66 offset1:77
	;; [unrolled: 1-line block ×6, first 2 shown]
	v_lshlrev_b32_e32 v0, 3, v52
	v_add3_u32 v2, 0, v0, v53
	ds_read_b64 v[56:57], v2
	ds_read_b64 v[58:59], v50 offset:1232
	s_waitcnt lgkmcnt(0)
	; wave barrier
	s_waitcnt vmcnt(3) lgkmcnt(0)
	v_mul_f32_e32 v0, v5, v23
	v_mul_f32_e32 v62, v5, v22
	;; [unrolled: 1-line block ×3, first 2 shown]
	s_waitcnt vmcnt(2)
	v_mul_f32_e32 v65, v9, v31
	v_mul_f32_e32 v69, v37, v5
	;; [unrolled: 1-line block ×3, first 2 shown]
	v_fma_f32 v0, v4, v22, -v0
	v_mul_f32_e32 v64, v7, v24
	v_mul_f32_e32 v66, v9, v30
	;; [unrolled: 1-line block ×10, first 2 shown]
	v_fmac_f32_e32 v62, v4, v23
	v_fma_f32 v11, v6, v24, -v63
	v_fma_f32 v22, v8, v30, -v65
	;; [unrolled: 1-line block ×3, first 2 shown]
	v_fmac_f32_e32 v70, v37, v4
	v_add_f32_e32 v4, v54, v0
	v_fmac_f32_e32 v64, v6, v25
	v_fma_f32 v25, v26, v6, -v5
	v_fmac_f32_e32 v71, v27, v6
	v_add_f32_e32 v5, v11, v22
	v_add_f32_e32 v6, v4, v11
	v_fmac_f32_e32 v66, v8, v31
	v_fma_f32 v23, v32, v10, -v67
	v_fmac_f32_e32 v68, v33, v10
	v_fma_f32 v26, v45, v8, -v7
	v_fmac_f32_e32 v72, v46, v8
	v_fma_f32 v4, -0.5, v5, v54
	v_add_f32_e32 v5, v6, v22
	s_waitcnt vmcnt(1)
	v_mul_f32_e32 v8, v29, v15
	v_fma_f32 v27, v34, v10, -v9
	v_fmac_f32_e32 v73, v35, v10
	v_sub_f32_e32 v7, v62, v68
	v_add_f32_e32 v6, v5, v23
	v_mul_f32_e32 v5, v39, v13
	v_mul_f32_e32 v31, v28, v15
	s_waitcnt vmcnt(0)
	v_mul_f32_e32 v9, v48, v17
	v_mul_f32_e32 v10, v59, v19
	v_fma_f32 v35, v28, v14, -v8
	v_mov_b32_e32 v8, v4
	v_fma_f32 v34, v38, v12, -v5
	v_fmac_f32_e32 v31, v29, v14
	v_fma_f32 v29, v47, v16, -v9
	v_fma_f32 v36, v58, v18, -v10
	v_fmac_f32_e32 v8, 0x3f737871, v7
	v_sub_f32_e32 v5, v64, v66
	v_sub_f32_e32 v9, v0, v11
	;; [unrolled: 1-line block ×3, first 2 shown]
	v_fmac_f32_e32 v4, 0xbf737871, v7
	v_fmac_f32_e32 v8, 0x3f167918, v5
	v_add_f32_e32 v9, v9, v10
	v_fmac_f32_e32 v4, 0xbf167918, v5
	v_fmac_f32_e32 v8, 0x3e9e377a, v9
	v_fmac_f32_e32 v4, 0x3e9e377a, v9
	v_add_f32_e32 v9, v0, v23
	v_fma_f32 v54, -0.5, v9, v54
	v_mov_b32_e32 v10, v54
	v_fmac_f32_e32 v10, 0xbf737871, v5
	v_fmac_f32_e32 v54, 0x3f737871, v5
	v_add_f32_e32 v5, v55, v62
	v_add_f32_e32 v5, v5, v64
	v_mul_f32_e32 v30, v38, v13
	v_add_f32_e32 v5, v5, v66
	v_fmac_f32_e32 v30, v39, v12
	v_fmac_f32_e32 v10, 0x3f167918, v7
	v_sub_f32_e32 v9, v11, v0
	v_sub_f32_e32 v12, v22, v23
	v_fmac_f32_e32 v54, 0xbf167918, v7
	v_add_f32_e32 v7, v5, v68
	v_add_f32_e32 v5, v64, v66
	;; [unrolled: 1-line block ×3, first 2 shown]
	v_fma_f32 v5, -0.5, v5, v55
	v_fmac_f32_e32 v10, 0x3e9e377a, v9
	v_fmac_f32_e32 v54, 0x3e9e377a, v9
	v_sub_f32_e32 v0, v0, v23
	v_mov_b32_e32 v9, v5
	v_fmac_f32_e32 v9, 0xbf737871, v0
	v_sub_f32_e32 v12, v11, v22
	v_sub_f32_e32 v11, v62, v64
	;; [unrolled: 1-line block ×3, first 2 shown]
	v_fmac_f32_e32 v5, 0x3f737871, v0
	v_fmac_f32_e32 v9, 0xbf167918, v12
	v_add_f32_e32 v11, v11, v13
	v_fmac_f32_e32 v5, 0x3f167918, v12
	v_fmac_f32_e32 v9, 0x3e9e377a, v11
	;; [unrolled: 1-line block ×3, first 2 shown]
	v_add_f32_e32 v11, v62, v68
	v_fmac_f32_e32 v55, -0.5, v11
	v_mov_b32_e32 v11, v55
	v_fmac_f32_e32 v11, 0x3f737871, v12
	v_fmac_f32_e32 v55, 0xbf737871, v12
	;; [unrolled: 1-line block ×4, first 2 shown]
	v_add_f32_e32 v0, v56, v24
	v_add_f32_e32 v0, v0, v25
	v_add_f32_e32 v0, v0, v26
	v_sub_f32_e32 v13, v64, v62
	v_sub_f32_e32 v14, v66, v68
	v_add_f32_e32 v12, v0, v27
	v_add_f32_e32 v0, v25, v26
	v_mul_f32_e32 v32, v47, v17
	v_add_f32_e32 v13, v13, v14
	v_fma_f32 v14, -0.5, v0, v56
	v_fmac_f32_e32 v32, v48, v16
	v_sub_f32_e32 v0, v70, v73
	v_mov_b32_e32 v16, v14
	v_fmac_f32_e32 v11, 0x3e9e377a, v13
	v_fmac_f32_e32 v55, 0x3e9e377a, v13
	;; [unrolled: 1-line block ×3, first 2 shown]
	v_sub_f32_e32 v13, v71, v72
	v_sub_f32_e32 v15, v24, v25
	;; [unrolled: 1-line block ×3, first 2 shown]
	v_fmac_f32_e32 v14, 0xbf737871, v0
	v_fmac_f32_e32 v16, 0x3f167918, v13
	v_add_f32_e32 v15, v15, v17
	v_fmac_f32_e32 v14, 0xbf167918, v13
	v_fmac_f32_e32 v16, 0x3e9e377a, v15
	;; [unrolled: 1-line block ×3, first 2 shown]
	v_add_f32_e32 v15, v24, v27
	v_mul_f32_e32 v33, v58, v19
	v_fma_f32 v56, -0.5, v15, v56
	v_fmac_f32_e32 v33, v59, v18
	v_mov_b32_e32 v18, v56
	v_fmac_f32_e32 v18, 0xbf737871, v13
	v_fmac_f32_e32 v56, 0x3f737871, v13
	;; [unrolled: 1-line block ×4, first 2 shown]
	v_add_f32_e32 v0, v57, v70
	v_add_f32_e32 v0, v0, v71
	v_sub_f32_e32 v15, v25, v24
	v_sub_f32_e32 v17, v26, v27
	v_add_f32_e32 v0, v0, v72
	v_add_f32_e32 v15, v15, v17
	;; [unrolled: 1-line block ×4, first 2 shown]
	v_fmac_f32_e32 v18, 0x3e9e377a, v15
	v_fmac_f32_e32 v56, 0x3e9e377a, v15
	v_fma_f32 v15, -0.5, v0, v57
	v_sub_f32_e32 v0, v24, v27
	v_mov_b32_e32 v17, v15
	v_fmac_f32_e32 v17, 0xbf737871, v0
	v_sub_f32_e32 v22, v25, v26
	v_sub_f32_e32 v19, v70, v71
	;; [unrolled: 1-line block ×3, first 2 shown]
	v_fmac_f32_e32 v15, 0x3f737871, v0
	v_fmac_f32_e32 v17, 0xbf167918, v22
	v_add_f32_e32 v19, v19, v23
	v_fmac_f32_e32 v15, 0x3f167918, v22
	v_fmac_f32_e32 v17, 0x3e9e377a, v19
	;; [unrolled: 1-line block ×3, first 2 shown]
	v_add_f32_e32 v19, v70, v73
	v_fmac_f32_e32 v57, -0.5, v19
	v_mov_b32_e32 v19, v57
	v_fmac_f32_e32 v19, 0x3f737871, v22
	v_fmac_f32_e32 v57, 0xbf737871, v22
	;; [unrolled: 1-line block ×4, first 2 shown]
	v_add_f32_e32 v0, v20, v34
	v_add_f32_e32 v0, v0, v35
	;; [unrolled: 1-line block ×3, first 2 shown]
	v_sub_f32_e32 v23, v71, v70
	v_sub_f32_e32 v24, v72, v73
	v_add_f32_e32 v22, v0, v36
	v_add_f32_e32 v0, v35, v29
	;; [unrolled: 1-line block ×3, first 2 shown]
	v_fma_f32 v24, -0.5, v0, v20
	v_sub_f32_e32 v0, v30, v33
	v_mov_b32_e32 v26, v24
	v_fmac_f32_e32 v19, 0x3e9e377a, v23
	v_fmac_f32_e32 v57, 0x3e9e377a, v23
	;; [unrolled: 1-line block ×3, first 2 shown]
	v_sub_f32_e32 v23, v31, v32
	v_sub_f32_e32 v25, v34, v35
	;; [unrolled: 1-line block ×3, first 2 shown]
	v_fmac_f32_e32 v24, 0xbf737871, v0
	v_fmac_f32_e32 v26, 0x3f167918, v23
	v_add_f32_e32 v25, v25, v27
	v_fmac_f32_e32 v24, 0xbf167918, v23
	v_fmac_f32_e32 v26, 0x3e9e377a, v25
	;; [unrolled: 1-line block ×3, first 2 shown]
	v_add_f32_e32 v25, v34, v36
	v_fma_f32 v20, -0.5, v25, v20
	v_mov_b32_e32 v28, v20
	v_fmac_f32_e32 v28, 0xbf737871, v23
	v_fmac_f32_e32 v20, 0x3f737871, v23
	;; [unrolled: 1-line block ×4, first 2 shown]
	v_add_f32_e32 v0, v21, v30
	v_add_f32_e32 v0, v0, v31
	v_sub_f32_e32 v25, v35, v34
	v_sub_f32_e32 v27, v29, v36
	v_add_f32_e32 v0, v0, v32
	v_add_f32_e32 v25, v25, v27
	;; [unrolled: 1-line block ×4, first 2 shown]
	v_fmac_f32_e32 v28, 0x3e9e377a, v25
	v_fmac_f32_e32 v20, 0x3e9e377a, v25
	v_fma_f32 v25, -0.5, v0, v21
	v_sub_f32_e32 v0, v34, v36
	v_mov_b32_e32 v27, v25
	v_fmac_f32_e32 v27, 0xbf737871, v0
	v_sub_f32_e32 v34, v35, v29
	v_sub_f32_e32 v29, v30, v31
	;; [unrolled: 1-line block ×3, first 2 shown]
	v_fmac_f32_e32 v25, 0x3f737871, v0
	v_fmac_f32_e32 v27, 0xbf167918, v34
	v_add_f32_e32 v29, v29, v35
	v_fmac_f32_e32 v25, 0x3f167918, v34
	v_fmac_f32_e32 v27, 0x3e9e377a, v29
	;; [unrolled: 1-line block ×3, first 2 shown]
	v_add_f32_e32 v29, v30, v33
	v_fmac_f32_e32 v21, -0.5, v29
	v_mov_b32_e32 v29, v21
	v_fmac_f32_e32 v29, 0x3f737871, v34
	v_fmac_f32_e32 v21, 0xbf737871, v34
	;; [unrolled: 1-line block ×4, first 2 shown]
	v_mov_b32_e32 v0, 3
	v_sub_f32_e32 v30, v31, v30
	v_sub_f32_e32 v31, v32, v33
	v_lshlrev_b32_sdwa v0, v0, v61 dst_sel:DWORD dst_unused:UNUSED_PAD src0_sel:DWORD src1_sel:BYTE_0
	v_add_f32_e32 v30, v30, v31
	v_add3_u32 v0, 0, v0, v53
	v_fmac_f32_e32 v29, 0x3e9e377a, v30
	v_fmac_f32_e32 v21, 0x3e9e377a, v30
	ds_write2_b64 v50, v[6:7], v[8:9] offset1:11
	ds_write2_b64 v50, v[10:11], v[54:55] offset0:22 offset1:33
	ds_write2_b64 v50, v[4:5], v[12:13] offset0:44 offset1:55
	ds_write2_b64 v50, v[16:17], v[18:19] offset0:66 offset1:77
	ds_write2_b64 v50, v[56:57], v[14:15] offset0:88 offset1:99
	ds_write2_b64 v0, v[22:23], v[26:27] offset0:110 offset1:121
	ds_write2_b64 v0, v[28:29], v[20:21] offset0:132 offset1:143
	ds_write_b64 v0, v[24:25] offset:1232
	v_lshlrev_b32_e32 v0, 1, v42
	v_lshlrev_b64 v[4:5], 3, v[0:1]
	v_lshlrev_b32_e32 v8, 1, v52
	v_mov_b32_e32 v9, v1
	v_add_co_u32_e64 v4, s[0:1], s12, v4
	v_lshlrev_b64 v[8:9], 3, v[8:9]
	v_addc_co_u32_e64 v5, s[0:1], v3, v5, s[0:1]
	v_lshlrev_b32_e32 v12, 1, v60
	v_mov_b32_e32 v13, v1
	s_waitcnt lgkmcnt(0)
	; wave barrier
	s_waitcnt lgkmcnt(0)
	global_load_dwordx4 v[4:7], v[4:5], off offset:352
	v_add_co_u32_e64 v8, s[0:1], s12, v8
	v_lshlrev_b64 v[12:13], 3, v[12:13]
	v_addc_co_u32_e64 v9, s[0:1], v3, v9, s[0:1]
	global_load_dwordx4 v[8:11], v[8:9], off offset:352
	v_add_u32_e32 v16, 0x42, v0
	v_mov_b32_e32 v17, v1
	v_add_co_u32_e64 v12, s[0:1], s12, v12
	v_lshlrev_b64 v[16:17], 3, v[16:17]
	v_addc_co_u32_e64 v13, s[0:1], v3, v13, s[0:1]
	v_add_u32_e32 v0, 0x58, v0
	global_load_dwordx4 v[12:15], v[12:13], off offset:352
	v_add_co_u32_e64 v16, s[0:1], s12, v16
	v_lshlrev_b64 v[20:21], 3, v[0:1]
	v_addc_co_u32_e64 v17, s[0:1], v3, v17, s[0:1]
	global_load_dwordx4 v[16:19], v[16:17], off offset:352
	v_add_co_u32_e64 v20, s[0:1], s12, v20
	v_addc_co_u32_e64 v21, s[0:1], v3, v21, s[0:1]
	global_load_dwordx4 v[20:23], v[20:21], off offset:352
	ds_read2_b64 v[24:27], v50 offset0:44 offset1:55
	ds_read2_b64 v[28:31], v50 offset0:110 offset1:121
	ds_read_b64 v[52:53], v2
	ds_read2_b64 v[32:35], v50 offset0:22 offset1:33
	ds_read2_b64 v[36:39], v50 offset0:132 offset1:143
	;; [unrolled: 1-line block ×3, first 2 shown]
	ds_read_b64 v[54:55], v51
	ds_read_b64 v[56:57], v50 offset:528
	ds_read2_b32 v[58:59], v50 offset0:154 offset1:155
	ds_read_b64 v[60:61], v50 offset:1232
	s_waitcnt lgkmcnt(0)
	; wave barrier
	s_waitcnt vmcnt(4) lgkmcnt(0)
	v_mul_f32_e32 v0, v5, v27
	v_fma_f32 v0, v4, v26, -v0
	v_mul_f32_e32 v26, v5, v26
	v_mul_f32_e32 v3, v7, v29
	v_fmac_f32_e32 v26, v4, v27
	v_fma_f32 v27, v6, v28, -v3
	s_waitcnt vmcnt(3)
	v_mul_f32_e32 v3, v9, v57
	v_mul_f32_e32 v7, v7, v28
	v_fma_f32 v28, v8, v56, -v3
	v_mul_f32_e32 v3, v11, v31
	v_fma_f32 v51, v10, v30, -v3
	v_mul_f32_e32 v11, v11, v30
	v_fmac_f32_e32 v7, v6, v29
	v_mul_f32_e32 v29, v9, v56
	v_add_f32_e32 v4, v0, v27
	s_waitcnt vmcnt(2)
	v_mul_f32_e32 v3, v59, v13
	v_fma_f32 v30, v12, v58, -v3
	v_mul_f32_e32 v3, v37, v15
	v_fma_f32 v56, v36, v14, -v3
	v_mul_f32_e32 v36, v36, v15
	v_fmac_f32_e32 v36, v37, v14
	s_waitcnt vmcnt(1)
	v_mul_f32_e32 v3, v46, v17
	v_fma_f32 v37, v45, v16, -v3
	v_mul_f32_e32 v45, v45, v17
	v_mul_f32_e32 v3, v39, v19
	v_fmac_f32_e32 v45, v46, v16
	v_fma_f32 v46, v38, v18, -v3
	v_mul_f32_e32 v38, v38, v19
	s_waitcnt vmcnt(0)
	v_mul_f32_e32 v3, v48, v21
	v_fmac_f32_e32 v38, v39, v18
	v_fma_f32 v39, v47, v20, -v3
	v_mul_f32_e32 v47, v47, v21
	v_mul_f32_e32 v3, v61, v23
	v_fmac_f32_e32 v47, v48, v20
	v_fma_f32 v48, v60, v22, -v3
	v_add_f32_e32 v3, v54, v0
	v_fma_f32 v54, -0.5, v4, v54
	v_sub_f32_e32 v4, v26, v7
	v_mov_b32_e32 v5, v54
	v_add_f32_e32 v6, v26, v7
	v_fmac_f32_e32 v5, 0x3f5db3d7, v4
	v_fmac_f32_e32 v54, 0xbf5db3d7, v4
	v_add_f32_e32 v4, v55, v26
	v_fmac_f32_e32 v55, -0.5, v6
	v_sub_f32_e32 v0, v0, v27
	v_mov_b32_e32 v6, v55
	v_fmac_f32_e32 v6, 0xbf5db3d7, v0
	v_fmac_f32_e32 v55, 0x3f5db3d7, v0
	v_add_f32_e32 v0, v52, v28
	v_add_f32_e32 v4, v4, v7
	;; [unrolled: 1-line block ×4, first 2 shown]
	v_fmac_f32_e32 v29, v8, v57
	v_fmac_f32_e32 v11, v10, v31
	v_fma_f32 v52, -0.5, v0, v52
	v_sub_f32_e32 v0, v29, v11
	v_mov_b32_e32 v9, v52
	v_fmac_f32_e32 v9, 0x3f5db3d7, v0
	v_fmac_f32_e32 v52, 0xbf5db3d7, v0
	v_add_f32_e32 v0, v53, v29
	v_add_f32_e32 v8, v0, v11
	;; [unrolled: 1-line block ×3, first 2 shown]
	v_fmac_f32_e32 v53, -0.5, v0
	v_sub_f32_e32 v0, v28, v51
	v_mov_b32_e32 v10, v53
	v_fmac_f32_e32 v10, 0xbf5db3d7, v0
	v_fmac_f32_e32 v53, 0x3f5db3d7, v0
	v_add_f32_e32 v0, v32, v30
	v_mul_f32_e32 v31, v13, v58
	v_add_f32_e32 v11, v0, v56
	v_add_f32_e32 v0, v30, v56
	v_fmac_f32_e32 v31, v59, v12
	v_fma_f32 v13, -0.5, v0, v32
	v_sub_f32_e32 v0, v31, v36
	v_mov_b32_e32 v15, v13
	v_fmac_f32_e32 v15, 0x3f5db3d7, v0
	v_fmac_f32_e32 v13, 0xbf5db3d7, v0
	v_add_f32_e32 v0, v33, v31
	v_add_f32_e32 v12, v0, v36
	v_add_f32_e32 v0, v31, v36
	v_fma_f32 v14, -0.5, v0, v33
	v_sub_f32_e32 v0, v30, v56
	v_mov_b32_e32 v16, v14
	v_fmac_f32_e32 v16, 0xbf5db3d7, v0
	v_fmac_f32_e32 v14, 0x3f5db3d7, v0
	v_add_f32_e32 v0, v34, v37
	v_add_f32_e32 v17, v0, v46
	v_add_f32_e32 v0, v37, v46
	;; [unrolled: 8-line block ×3, first 2 shown]
	v_fmac_f32_e32 v35, -0.5, v0
	v_sub_f32_e32 v0, v37, v46
	v_mov_b32_e32 v20, v35
	v_fmac_f32_e32 v20, 0xbf5db3d7, v0
	v_fmac_f32_e32 v35, 0x3f5db3d7, v0
	v_add_f32_e32 v0, v24, v39
	v_mul_f32_e32 v23, v60, v23
	v_add_f32_e32 v21, v0, v48
	v_add_f32_e32 v0, v39, v48
	v_fmac_f32_e32 v23, v61, v22
	v_fma_f32 v24, -0.5, v0, v24
	v_sub_f32_e32 v0, v47, v23
	v_mov_b32_e32 v26, v24
	v_fmac_f32_e32 v26, 0x3f5db3d7, v0
	v_fmac_f32_e32 v24, 0xbf5db3d7, v0
	v_add_f32_e32 v0, v25, v47
	v_add_f32_e32 v22, v0, v23
	;; [unrolled: 1-line block ×3, first 2 shown]
	v_fmac_f32_e32 v25, -0.5, v0
	v_add_f32_e32 v3, v3, v27
	v_sub_f32_e32 v0, v39, v48
	v_mov_b32_e32 v27, v25
	v_fmac_f32_e32 v27, 0xbf5db3d7, v0
	v_fmac_f32_e32 v25, 0x3f5db3d7, v0
	ds_write_b64 v50, v[3:4]
	ds_write_b64 v50, v[5:6] offset:440
	ds_write_b64 v50, v[54:55] offset:880
	ds_write2_b64 v2, v[7:8], v[9:10] offset1:55
	ds_write_b64 v2, v[52:53] offset:880
	ds_write2_b64 v50, v[11:12], v[17:18] offset0:22 offset1:33
	ds_write2_b64 v50, v[15:16], v[19:20] offset0:77 offset1:88
	;; [unrolled: 1-line block ×3, first 2 shown]
	ds_write_b64 v50, v[21:22] offset:352
	ds_write_b64 v50, v[26:27] offset:792
	;; [unrolled: 1-line block ×3, first 2 shown]
	s_waitcnt lgkmcnt(0)
	; wave barrier
	s_waitcnt lgkmcnt(0)
	s_and_saveexec_b64 s[0:1], vcc
	s_cbranch_execz .LBB0_16
; %bb.15:
	v_mul_lo_u32 v0, s3, v43
	v_mul_lo_u32 v2, s2, v44
	v_mad_u64_u32 v[6:7], s[0:1], s2, v43, 0
	v_lshl_add_u32 v8, v42, 3, v49
	v_mov_b32_e32 v43, v1
	v_add3_u32 v7, v7, v2, v0
	v_lshlrev_b64 v[6:7], 3, v[6:7]
	v_mov_b32_e32 v0, s11
	v_add_co_u32_e32 v9, vcc, s10, v6
	v_addc_co_u32_e32 v0, vcc, v0, v7, vcc
	v_lshlrev_b64 v[6:7], 3, v[40:41]
	ds_read2_b64 v[2:5], v8 offset1:11
	v_add_co_u32_e32 v9, vcc, v9, v6
	v_addc_co_u32_e32 v10, vcc, v0, v7, vcc
	v_lshlrev_b64 v[6:7], 3, v[42:43]
	v_add_u32_e32 v0, 11, v42
	v_add_co_u32_e32 v6, vcc, v9, v6
	v_addc_co_u32_e32 v7, vcc, v10, v7, vcc
	s_waitcnt lgkmcnt(0)
	global_store_dwordx2 v[6:7], v[2:3], off
	v_lshlrev_b64 v[2:3], 3, v[0:1]
	v_add_u32_e32 v0, 22, v42
	v_add_co_u32_e32 v2, vcc, v9, v2
	v_addc_co_u32_e32 v3, vcc, v10, v3, vcc
	global_store_dwordx2 v[2:3], v[4:5], off
	ds_read2_b64 v[2:5], v8 offset0:22 offset1:33
	v_lshlrev_b64 v[6:7], 3, v[0:1]
	v_add_u32_e32 v0, 33, v42
	v_add_co_u32_e32 v6, vcc, v9, v6
	v_addc_co_u32_e32 v7, vcc, v10, v7, vcc
	s_waitcnt lgkmcnt(0)
	global_store_dwordx2 v[6:7], v[2:3], off
	v_lshlrev_b64 v[2:3], 3, v[0:1]
	v_add_u32_e32 v0, 44, v42
	v_add_co_u32_e32 v2, vcc, v9, v2
	v_addc_co_u32_e32 v3, vcc, v10, v3, vcc
	global_store_dwordx2 v[2:3], v[4:5], off
	ds_read2_b64 v[2:5], v8 offset0:44 offset1:55
	;; [unrolled: 12-line block ×6, first 2 shown]
	v_lshlrev_b64 v[6:7], 3, v[0:1]
	v_add_u32_e32 v0, 0x8f, v42
	v_add_co_u32_e32 v6, vcc, v9, v6
	v_addc_co_u32_e32 v7, vcc, v10, v7, vcc
	s_waitcnt lgkmcnt(0)
	global_store_dwordx2 v[6:7], v[2:3], off
	v_lshlrev_b64 v[2:3], 3, v[0:1]
	v_add_u32_e32 v0, 0x9a, v42
	v_add_co_u32_e32 v2, vcc, v9, v2
	v_addc_co_u32_e32 v3, vcc, v10, v3, vcc
	global_store_dwordx2 v[2:3], v[4:5], off
	ds_read_b64 v[2:3], v8 offset:1232
	v_lshlrev_b64 v[0:1], 3, v[0:1]
	v_add_co_u32_e32 v0, vcc, v9, v0
	v_addc_co_u32_e32 v1, vcc, v10, v1, vcc
	s_waitcnt lgkmcnt(0)
	global_store_dwordx2 v[0:1], v[2:3], off
.LBB0_16:
	s_endpgm
	.section	.rodata,"a",@progbits
	.p2align	6, 0x0
	.amdhsa_kernel fft_rtc_fwd_len165_factors_11_5_3_wgs_55_tpt_11_sp_op_CI_CI_unitstride_sbrr_dirReg
		.amdhsa_group_segment_fixed_size 0
		.amdhsa_private_segment_fixed_size 0
		.amdhsa_kernarg_size 104
		.amdhsa_user_sgpr_count 6
		.amdhsa_user_sgpr_private_segment_buffer 1
		.amdhsa_user_sgpr_dispatch_ptr 0
		.amdhsa_user_sgpr_queue_ptr 0
		.amdhsa_user_sgpr_kernarg_segment_ptr 1
		.amdhsa_user_sgpr_dispatch_id 0
		.amdhsa_user_sgpr_flat_scratch_init 0
		.amdhsa_user_sgpr_private_segment_size 0
		.amdhsa_uses_dynamic_stack 0
		.amdhsa_system_sgpr_private_segment_wavefront_offset 0
		.amdhsa_system_sgpr_workgroup_id_x 1
		.amdhsa_system_sgpr_workgroup_id_y 0
		.amdhsa_system_sgpr_workgroup_id_z 0
		.amdhsa_system_sgpr_workgroup_info 0
		.amdhsa_system_vgpr_workitem_id 0
		.amdhsa_next_free_vgpr 88
		.amdhsa_next_free_sgpr 28
		.amdhsa_reserve_vcc 1
		.amdhsa_reserve_flat_scratch 0
		.amdhsa_float_round_mode_32 0
		.amdhsa_float_round_mode_16_64 0
		.amdhsa_float_denorm_mode_32 3
		.amdhsa_float_denorm_mode_16_64 3
		.amdhsa_dx10_clamp 1
		.amdhsa_ieee_mode 1
		.amdhsa_fp16_overflow 0
		.amdhsa_exception_fp_ieee_invalid_op 0
		.amdhsa_exception_fp_denorm_src 0
		.amdhsa_exception_fp_ieee_div_zero 0
		.amdhsa_exception_fp_ieee_overflow 0
		.amdhsa_exception_fp_ieee_underflow 0
		.amdhsa_exception_fp_ieee_inexact 0
		.amdhsa_exception_int_div_zero 0
	.end_amdhsa_kernel
	.text
.Lfunc_end0:
	.size	fft_rtc_fwd_len165_factors_11_5_3_wgs_55_tpt_11_sp_op_CI_CI_unitstride_sbrr_dirReg, .Lfunc_end0-fft_rtc_fwd_len165_factors_11_5_3_wgs_55_tpt_11_sp_op_CI_CI_unitstride_sbrr_dirReg
                                        ; -- End function
	.section	.AMDGPU.csdata,"",@progbits
; Kernel info:
; codeLenInByte = 8944
; NumSgprs: 32
; NumVgprs: 88
; ScratchSize: 0
; MemoryBound: 0
; FloatMode: 240
; IeeeMode: 1
; LDSByteSize: 0 bytes/workgroup (compile time only)
; SGPRBlocks: 3
; VGPRBlocks: 21
; NumSGPRsForWavesPerEU: 32
; NumVGPRsForWavesPerEU: 88
; Occupancy: 2
; WaveLimiterHint : 1
; COMPUTE_PGM_RSRC2:SCRATCH_EN: 0
; COMPUTE_PGM_RSRC2:USER_SGPR: 6
; COMPUTE_PGM_RSRC2:TRAP_HANDLER: 0
; COMPUTE_PGM_RSRC2:TGID_X_EN: 1
; COMPUTE_PGM_RSRC2:TGID_Y_EN: 0
; COMPUTE_PGM_RSRC2:TGID_Z_EN: 0
; COMPUTE_PGM_RSRC2:TIDIG_COMP_CNT: 0
	.type	__hip_cuid_48f0550aa2e61996,@object ; @__hip_cuid_48f0550aa2e61996
	.section	.bss,"aw",@nobits
	.globl	__hip_cuid_48f0550aa2e61996
__hip_cuid_48f0550aa2e61996:
	.byte	0                               ; 0x0
	.size	__hip_cuid_48f0550aa2e61996, 1

	.ident	"AMD clang version 19.0.0git (https://github.com/RadeonOpenCompute/llvm-project roc-6.4.0 25133 c7fe45cf4b819c5991fe208aaa96edf142730f1d)"
	.section	".note.GNU-stack","",@progbits
	.addrsig
	.addrsig_sym __hip_cuid_48f0550aa2e61996
	.amdgpu_metadata
---
amdhsa.kernels:
  - .args:
      - .actual_access:  read_only
        .address_space:  global
        .offset:         0
        .size:           8
        .value_kind:     global_buffer
      - .offset:         8
        .size:           8
        .value_kind:     by_value
      - .actual_access:  read_only
        .address_space:  global
        .offset:         16
        .size:           8
        .value_kind:     global_buffer
      - .actual_access:  read_only
        .address_space:  global
        .offset:         24
        .size:           8
        .value_kind:     global_buffer
      - .actual_access:  read_only
        .address_space:  global
        .offset:         32
        .size:           8
        .value_kind:     global_buffer
      - .offset:         40
        .size:           8
        .value_kind:     by_value
      - .actual_access:  read_only
        .address_space:  global
        .offset:         48
        .size:           8
        .value_kind:     global_buffer
      - .actual_access:  read_only
        .address_space:  global
        .offset:         56
        .size:           8
        .value_kind:     global_buffer
      - .offset:         64
        .size:           4
        .value_kind:     by_value
      - .actual_access:  read_only
        .address_space:  global
        .offset:         72
        .size:           8
        .value_kind:     global_buffer
      - .actual_access:  read_only
        .address_space:  global
        .offset:         80
        .size:           8
        .value_kind:     global_buffer
      - .actual_access:  read_only
        .address_space:  global
        .offset:         88
        .size:           8
        .value_kind:     global_buffer
      - .actual_access:  write_only
        .address_space:  global
        .offset:         96
        .size:           8
        .value_kind:     global_buffer
    .group_segment_fixed_size: 0
    .kernarg_segment_align: 8
    .kernarg_segment_size: 104
    .language:       OpenCL C
    .language_version:
      - 2
      - 0
    .max_flat_workgroup_size: 55
    .name:           fft_rtc_fwd_len165_factors_11_5_3_wgs_55_tpt_11_sp_op_CI_CI_unitstride_sbrr_dirReg
    .private_segment_fixed_size: 0
    .sgpr_count:     32
    .sgpr_spill_count: 0
    .symbol:         fft_rtc_fwd_len165_factors_11_5_3_wgs_55_tpt_11_sp_op_CI_CI_unitstride_sbrr_dirReg.kd
    .uniform_work_group_size: 1
    .uses_dynamic_stack: false
    .vgpr_count:     88
    .vgpr_spill_count: 0
    .wavefront_size: 64
amdhsa.target:   amdgcn-amd-amdhsa--gfx906
amdhsa.version:
  - 1
  - 2
...

	.end_amdgpu_metadata
